;; amdgpu-corpus repo=zjin-lcf/HeCBench kind=compiled arch=gfx1030 opt=O3
	.amdgcn_target "amdgcn-amd-amdhsa--gfx1030"
	.amdhsa_code_object_version 6
	.text
	.protected	_Z9conv_rowsPfPKfS1_iii ; -- Begin function _Z9conv_rowsPfPKfS1_iii
	.globl	_Z9conv_rowsPfPKfS1_iii
	.p2align	8
	.type	_Z9conv_rowsPfPKfS1_iii,@function
_Z9conv_rowsPfPKfS1_iii:                ; @_Z9conv_rowsPfPKfS1_iii
; %bb.0:
	s_load_dword s8, s[4:5], 0x20
	s_lshl_b32 s0, s6, 7
	v_lshl_add_u32 v2, s7, 2, v1
	v_add3_u32 v6, v0, s0, -16
	s_clause 0x1
	s_load_dwordx4 s[0:3], s[4:5], 0x0
	s_load_dwordx2 s[6:7], s[4:5], 0x10
	v_lshlrev_b32_e32 v0, 2, v0
	s_waitcnt lgkmcnt(0)
	v_mad_u64_u32 v[2:3], null, s8, v2, v[6:7]
	v_mad_u32_u24 v7, 0x280, v1, v0
	v_mov_b32_e32 v0, 0
	v_mov_b32_e32 v1, 0
	v_ashrrev_i32_e32 v3, 31, v2
	v_lshlrev_b64 v[2:3], 2, v[2:3]
	v_add_co_u32 v4, vcc_lo, s2, v2
	v_add_co_ci_u32_e64 v5, null, s3, v3, vcc_lo
	s_mov_b32 s2, exec_lo
	s_clause 0x7
	global_load_dword v8, v[4:5], off offset:64
	global_load_dword v9, v[4:5], off offset:128
	;; [unrolled: 1-line block ×8, first 2 shown]
	s_waitcnt vmcnt(6)
	ds_write2_b32 v7, v8, v9 offset0:16 offset1:32
	s_waitcnt vmcnt(4)
	ds_write2_b32 v7, v10, v11 offset0:48 offset1:64
	;; [unrolled: 2-line block ×4, first 2 shown]
	v_cmpx_lt_i32_e32 -1, v6
	s_cbranch_execz .LBB0_2
; %bb.1:
	global_load_dword v1, v[4:5], off
.LBB0_2:
	s_or_b32 exec_lo, exec_lo, s2
	s_load_dword s2, s[4:5], 0x18
	v_add_nc_u32_e32 v6, 0x90, v6
	s_waitcnt vmcnt(0)
	ds_write_b32 v7, v1
	s_waitcnt lgkmcnt(0)
	v_cmp_gt_i32_e32 vcc_lo, s2, v6
	s_and_saveexec_b32 s2, vcc_lo
	s_cbranch_execz .LBB0_4
; %bb.3:
	global_load_dword v0, v[4:5], off offset:576
.LBB0_4:
	s_or_b32 exec_lo, exec_lo, s2
	s_waitcnt vmcnt(0)
	ds_write_b32 v7, v0 offset:576
	s_waitcnt lgkmcnt(0)
	s_barrier
	buffer_gl0_inv
	s_load_dwordx2 s[16:17], s[6:7], 0x3c
	ds_read2_b32 v[8:9], v7 offset0:8 offset1:9
	s_clause 0x1
	s_load_dwordx2 s[14:15], s[6:7], 0x38
	s_load_dwordx2 s[12:13], s[6:7], 0x34
	ds_read2_b32 v[0:1], v7 offset0:24 offset1:25
	ds_read2_b32 v[10:11], v7 offset0:10 offset1:11
	s_clause 0x5
	s_load_dwordx2 s[20:21], s[6:7], 0x3c
	s_load_dwordx2 s[2:3], s[6:7], 0xc
	;; [unrolled: 1-line block ×6, first 2 shown]
	ds_read2_b32 v[12:13], v7 offset0:12 offset1:13
	ds_read2_b32 v[4:5], v7 offset0:14 offset1:15
	s_clause 0x1
	s_load_dword s33, s[6:7], 0x38
	s_load_dword s42, s[6:7], 0x38
	ds_read2_b32 v[14:15], v7 offset0:26 offset1:27
	s_load_dwordx2 s[28:29], s[6:7], 0x2c
	s_waitcnt lgkmcnt(0)
	v_fma_f32 v30, s17, v8, 0
	s_clause 0x2
	s_load_dword s44, s[6:7], 0x34
	s_load_dword s17, s[6:7], 0x34
	s_load_dwordx2 s[26:27], s[6:7], 0x28
	v_fma_f32 v31, s21, v0, 0
	v_fmac_f32_e32 v30, s15, v9
	ds_read2_b32 v[8:9], v7 offset0:28 offset1:29
	ds_read2_b32 v[16:17], v7 offset0:30 offset1:31
	;; [unrolled: 1-line block ×3, first 2 shown]
	s_clause 0x4
	s_load_dword s43, s[6:7], 0x2c
	s_load_dword s46, s[6:7], 0x30
	;; [unrolled: 1-line block ×5, first 2 shown]
	v_fmac_f32_e32 v30, s13, v10
	v_fmac_f32_e32 v31, s15, v1
	s_clause 0x2
	s_load_dwordx2 s[30:31], s[6:7], 0x24
	s_load_dword s45, s[6:7], 0x28
	s_load_dword s15, s[6:7], 0x28
	v_add_co_u32 v1, vcc_lo, s0, v2
	v_fmac_f32_e32 v30, s19, v11
	v_fmac_f32_e32 v31, s13, v14
	ds_read2_b32 v[10:11], v7 offset0:42 offset1:43
	s_clause 0x1
	s_load_dwordx2 s[22:23], s[6:7], 0x1c
	s_load_dwordx2 s[24:25], s[6:7], 0x20
	v_add_co_ci_u32_e64 v2, null, s1, v3, vcc_lo
	v_fmac_f32_e32 v31, s19, v15
	v_fmac_f32_e32 v30, s29, v12
	s_waitcnt lgkmcnt(0)
	v_fmac_f32_e32 v31, s29, v8
	v_fma_f32 v32, s21, v18, 0
	v_fmac_f32_e32 v30, s27, v13
	ds_read2_b32 v[12:13], v7 offset0:16 offset1:17
	ds_read2_b32 v[14:15], v7 offset0:44 offset1:45
	;; [unrolled: 1-line block ×3, first 2 shown]
	s_clause 0x6
	s_load_dword s13, s[6:7], 0x40
	s_load_dword s19, s[6:7], 0x40
	;; [unrolled: 1-line block ×7, first 2 shown]
	v_fmac_f32_e32 v32, s47, v19
	v_fmac_f32_e32 v31, s27, v9
	ds_read2_b32 v[8:9], v7 offset0:32 offset1:33
	v_fmac_f32_e32 v30, s31, v4
	s_clause 0x1
	s_load_dword s27, s[6:7], 0x1c
	s_load_dword s51, s[6:7], 0x1c
	v_fmac_f32_e32 v32, s33, v10
	v_fmac_f32_e32 v31, s31, v16
	;; [unrolled: 1-line block ×3, first 2 shown]
	ds_read2_b32 v[4:5], v7 offset0:18 offset1:19
	v_fmac_f32_e32 v32, s44, v11
	ds_read2_b32 v[10:11], v7 offset0:20 offset1:21
	ds_read2_b32 v[22:23], v7 offset0:22 offset1:23
	v_fmac_f32_e32 v31, s25, v17
	ds_read2_b32 v[16:17], v7 offset0:34 offset1:35
	ds_read2_b32 v[24:25], v7 offset0:48 offset1:49
	s_waitcnt lgkmcnt(0)
	v_fmac_f32_e32 v30, s23, v12
	v_fmac_f32_e32 v32, s46, v14
	s_clause 0x3
	s_load_dword s25, s[6:7], 0x14
	s_load_dword s31, s[6:7], 0x18
	;; [unrolled: 1-line block ×4, first 2 shown]
	v_fmac_f32_e32 v30, s11, v13
	v_fmac_f32_e32 v32, s43, v15
	;; [unrolled: 1-line block ×3, first 2 shown]
	ds_read2_b32 v[12:13], v7 offset0:36 offset1:37
	ds_read2_b32 v[26:27], v7 offset0:38 offset1:39
	s_clause 0x1
	s_load_dword s23, s[6:7], 0x10
	s_load_dword s54, s[6:7], 0x10
	v_fmac_f32_e32 v32, s45, v20
	v_fmac_f32_e32 v31, s11, v9
	ds_read2_b32 v[8:9], v7 offset0:50 offset1:51
	s_clause 0x1
	s_load_dwordx2 s[34:35], s[6:7], 0x4
	s_load_dwordx2 s[36:37], s[6:7], 0x8
	ds_read2_b32 v[14:15], v7 offset0:56 offset1:57
	v_fmac_f32_e32 v32, s48, v21
	v_fmac_f32_e32 v30, s9, v4
	;; [unrolled: 1-line block ×5, first 2 shown]
	ds_read2_b32 v[4:5], v7 offset0:52 offset1:53
	ds_read2_b32 v[19:20], v7 offset0:54 offset1:55
	s_clause 0x3
	s_load_dword s9, s[6:7], 0x8
	s_load_dword s11, s[6:7], 0xc
	;; [unrolled: 1-line block ×4, first 2 shown]
	v_fmac_f32_e32 v31, s5, v17
	v_fmac_f32_e32 v32, s27, v25
	s_clause 0x1
	s_load_dword s5, s[6:7], 0x0
	s_load_dwordx2 s[38:39], s[6:7], 0x0
	ds_read2_b32 v[16:17], v7 offset0:58 offset1:59
	v_fmac_f32_e32 v30, s3, v10
	s_waitcnt lgkmcnt(0)
	v_fmac_f32_e32 v31, s3, v12
	ds_read2_b32 v[24:25], v7 offset0:60 offset1:61
	ds_read2_b32 v[28:29], v7 offset0:62 offset1:63
	s_clause 0x1
	s_load_dword s3, s[6:7], 0x4
	s_load_dword s57, s[6:7], 0x4
	v_fmac_f32_e32 v32, s31, v8
	v_fmac_f32_e32 v30, s37, v11
	v_fma_f32 v49, s13, v14, 0
	v_fmac_f32_e32 v31, s37, v13
	v_fmac_f32_e32 v32, s25, v9
	ds_read2_b32 v[8:9], v7 offset0:72 offset1:73
	v_fmac_f32_e32 v49, s47, v15
	v_fmac_f32_e32 v30, s35, v22
	;; [unrolled: 1-line block ×4, first 2 shown]
	s_clause 0x1
	s_load_dword s0, s[6:7], 0x0
	s_load_dword s1, s[6:7], 0x0
	ds_read2_b32 v[3:4], v7 offset0:74 offset1:75
	v_fmac_f32_e32 v30, s39, v23
	v_fmac_f32_e32 v49, s33, v16
	;; [unrolled: 1-line block ×3, first 2 shown]
	ds_read2_b32 v[5:6], v7 offset0:88 offset1:89
	v_fmac_f32_e32 v31, s39, v27
	v_fmac_f32_e32 v30, s5, v0
	;; [unrolled: 1-line block ×4, first 2 shown]
	ds_read2_b32 v[10:11], v7 offset0:76 offset1:77
	ds_read2_b32 v[12:13], v7 offset0:78 offset1:79
	v_fmac_f32_e32 v31, s5, v18
	ds_read2_b32 v[15:16], v7 offset0:90 offset1:91
	ds_read2_b32 v[17:18], v7 offset0:104 offset1:105
	s_waitcnt lgkmcnt(0)
	v_fmac_f32_e32 v49, s46, v24
	v_fma_f32 v0, s13, v8, 0
	global_store_dword v[1:2], v30, off offset:64
	v_fmac_f32_e32 v32, s3, v20
	global_store_dword v[1:2], v31, off offset:128
	v_fmac_f32_e32 v49, s43, v25
	v_fmac_f32_e32 v0, s20, v9
	ds_read2_b32 v[19:20], v7 offset0:120 offset1:121
	ds_read2_b32 v[21:22], v7 offset0:92 offset1:93
	;; [unrolled: 1-line block ×3, first 2 shown]
	v_fmac_f32_e32 v32, s0, v14
	ds_read2_b32 v[25:26], v7 offset0:64 offset1:65
	v_fmac_f32_e32 v49, s45, v28
	v_fmac_f32_e32 v0, s42, v3
	v_fma_f32 v50, s19, v5, 0
	global_store_dword v[1:2], v32, off offset:192
	v_fmac_f32_e32 v49, s48, v29
	v_fmac_f32_e32 v0, s17, v4
	ds_read2_b32 v[3:4], v7 offset0:106 offset1:107
	ds_read2_b32 v[27:28], v7 offset0:122 offset1:123
	;; [unrolled: 1-line block ×5, first 2 shown]
	v_fmac_f32_e32 v50, s20, v6
	v_fma_f32 v6, s19, v17, 0
	v_fmac_f32_e32 v0, s41, v10
	v_fmac_f32_e32 v50, s42, v15
	ds_read2_b32 v[9:10], v7 offset0:108 offset1:109
	ds_read2_b32 v[14:15], v7 offset0:110 offset1:111
	s_waitcnt lgkmcnt(10)
	v_fma_f32 v51, s21, v19, 0
	ds_read2_b32 v[35:36], v7 offset0:124 offset1:125
	ds_read2_b32 v[37:38], v7 offset0:126 offset1:127
	v_fmac_f32_e32 v6, s16, v18
	v_fmac_f32_e32 v50, s17, v16
	;; [unrolled: 1-line block ×4, first 2 shown]
	ds_read2_b32 v[39:40], v7 offset0:80 offset1:81
	s_waitcnt lgkmcnt(10)
	v_fmac_f32_e32 v49, s29, v25
	s_waitcnt lgkmcnt(9)
	v_fmac_f32_e32 v6, s14, v3
	v_fmac_f32_e32 v50, s41, v21
	s_waitcnt lgkmcnt(8)
	v_fmac_f32_e32 v51, s14, v27
	v_fmac_f32_e32 v0, s15, v12
	ds_read2_b32 v[11:12], v7 offset0:96 offset1:97
	v_fmac_f32_e32 v6, s12, v4
	v_fmac_f32_e32 v50, s40, v22
	;; [unrolled: 1-line block ×3, first 2 shown]
	ds_read2_b32 v[3:4], v7 offset0:82 offset1:83
	ds_read2_b32 v[20:21], v7 offset0:84 offset1:85
	;; [unrolled: 1-line block ×4, first 2 shown]
	s_waitcnt lgkmcnt(9)
	v_fmac_f32_e32 v6, s18, v9
	v_fmac_f32_e32 v50, s15, v23
	s_waitcnt lgkmcnt(7)
	v_fmac_f32_e32 v51, s18, v35
	ds_read2_b32 v[22:23], v7 offset0:128 offset1:129
	v_fmac_f32_e32 v0, s49, v13
	v_fmac_f32_e32 v6, s28, v10
	v_fmac_f32_e32 v50, s49, v24
	v_fmac_f32_e32 v51, s28, v36
	v_fmac_f32_e32 v49, s27, v26
	s_waitcnt lgkmcnt(6)
	v_fmac_f32_e32 v0, s50, v39
	v_fmac_f32_e32 v6, s26, v14
	ds_read2_b32 v[13:14], v7 offset0:114 offset1:115
	ds_read2_b32 v[9:10], v7 offset0:98 offset1:99
	v_fmac_f32_e32 v51, s26, v37
	ds_read2_b32 v[24:25], v7 offset0:130 offset1:131
	ds_read2_b32 v[35:36], v7 offset0:100 offset1:101
	;; [unrolled: 1-line block ×3, first 2 shown]
	v_fmac_f32_e32 v6, s30, v15
	s_waitcnt lgkmcnt(10)
	v_fmac_f32_e32 v50, s50, v11
	v_fmac_f32_e32 v0, s51, v40
	;; [unrolled: 1-line block ×3, first 2 shown]
	ds_read2_b32 v[15:16], v7 offset0:116 offset1:117
	ds_read2_b32 v[37:38], v7 offset0:118 offset1:119
	s_waitcnt lgkmcnt(8)
	v_fmac_f32_e32 v6, s24, v41
	ds_read2_b32 v[45:46], v7 offset0:132 offset1:133
	ds_read2_b32 v[47:48], v7 offset0:134 offset1:135
	v_fmac_f32_e32 v50, s51, v12
	s_waitcnt lgkmcnt(9)
	v_fmac_f32_e32 v51, s24, v22
	v_fmac_f32_e32 v49, s31, v29
	;; [unrolled: 1-line block ×4, first 2 shown]
	ds_read_b32 v3, v7 offset:544
	v_fmac_f32_e32 v51, s22, v23
	v_fmac_f32_e32 v49, s25, v30
	s_waitcnt lgkmcnt(9)
	v_fmac_f32_e32 v6, s10, v13
	s_waitcnt lgkmcnt(8)
	;; [unrolled: 2-line block ×3, first 2 shown]
	v_fmac_f32_e32 v51, s10, v24
	v_fmac_f32_e32 v0, s53, v4
	;; [unrolled: 1-line block ×8, first 2 shown]
	s_waitcnt lgkmcnt(4)
	v_fmac_f32_e32 v6, s4, v15
	v_fmac_f32_e32 v50, s54, v35
	s_waitcnt lgkmcnt(2)
	v_fmac_f32_e32 v51, s4, v45
	v_fmac_f32_e32 v0, s55, v21
	;; [unrolled: 1-line block ×10, first 2 shown]
	s_waitcnt lgkmcnt(1)
	v_fmac_f32_e32 v51, s36, v47
	v_fmac_f32_e32 v0, s57, v28
	;; [unrolled: 1-line block ×9, first 2 shown]
	s_waitcnt lgkmcnt(0)
	v_fmac_f32_e32 v51, s38, v3
	global_store_dword v[1:2], v49, off offset:256
	global_store_dword v[1:2], v0, off offset:320
	;; [unrolled: 1-line block ×5, first 2 shown]
	s_endpgm
	.section	.rodata,"a",@progbits
	.p2align	6, 0x0
	.amdhsa_kernel _Z9conv_rowsPfPKfS1_iii
		.amdhsa_group_segment_fixed_size 2560
		.amdhsa_private_segment_fixed_size 0
		.amdhsa_kernarg_size 36
		.amdhsa_user_sgpr_count 6
		.amdhsa_user_sgpr_private_segment_buffer 1
		.amdhsa_user_sgpr_dispatch_ptr 0
		.amdhsa_user_sgpr_queue_ptr 0
		.amdhsa_user_sgpr_kernarg_segment_ptr 1
		.amdhsa_user_sgpr_dispatch_id 0
		.amdhsa_user_sgpr_flat_scratch_init 0
		.amdhsa_user_sgpr_private_segment_size 0
		.amdhsa_wavefront_size32 1
		.amdhsa_uses_dynamic_stack 0
		.amdhsa_system_sgpr_private_segment_wavefront_offset 0
		.amdhsa_system_sgpr_workgroup_id_x 1
		.amdhsa_system_sgpr_workgroup_id_y 1
		.amdhsa_system_sgpr_workgroup_id_z 0
		.amdhsa_system_sgpr_workgroup_info 0
		.amdhsa_system_vgpr_workitem_id 1
		.amdhsa_next_free_vgpr 52
		.amdhsa_next_free_sgpr 58
		.amdhsa_reserve_vcc 1
		.amdhsa_reserve_flat_scratch 0
		.amdhsa_float_round_mode_32 0
		.amdhsa_float_round_mode_16_64 0
		.amdhsa_float_denorm_mode_32 3
		.amdhsa_float_denorm_mode_16_64 3
		.amdhsa_dx10_clamp 1
		.amdhsa_ieee_mode 1
		.amdhsa_fp16_overflow 0
		.amdhsa_workgroup_processor_mode 1
		.amdhsa_memory_ordered 1
		.amdhsa_forward_progress 1
		.amdhsa_shared_vgpr_count 0
		.amdhsa_exception_fp_ieee_invalid_op 0
		.amdhsa_exception_fp_denorm_src 0
		.amdhsa_exception_fp_ieee_div_zero 0
		.amdhsa_exception_fp_ieee_overflow 0
		.amdhsa_exception_fp_ieee_underflow 0
		.amdhsa_exception_fp_ieee_inexact 0
		.amdhsa_exception_int_div_zero 0
	.end_amdhsa_kernel
	.text
.Lfunc_end0:
	.size	_Z9conv_rowsPfPKfS1_iii, .Lfunc_end0-_Z9conv_rowsPfPKfS1_iii
                                        ; -- End function
	.set _Z9conv_rowsPfPKfS1_iii.num_vgpr, 52
	.set _Z9conv_rowsPfPKfS1_iii.num_agpr, 0
	.set _Z9conv_rowsPfPKfS1_iii.numbered_sgpr, 58
	.set _Z9conv_rowsPfPKfS1_iii.num_named_barrier, 0
	.set _Z9conv_rowsPfPKfS1_iii.private_seg_size, 0
	.set _Z9conv_rowsPfPKfS1_iii.uses_vcc, 1
	.set _Z9conv_rowsPfPKfS1_iii.uses_flat_scratch, 0
	.set _Z9conv_rowsPfPKfS1_iii.has_dyn_sized_stack, 0
	.set _Z9conv_rowsPfPKfS1_iii.has_recursion, 0
	.set _Z9conv_rowsPfPKfS1_iii.has_indirect_call, 0
	.section	.AMDGPU.csdata,"",@progbits
; Kernel info:
; codeLenInByte = 2084
; TotalNumSgprs: 60
; NumVgprs: 52
; ScratchSize: 0
; MemoryBound: 0
; FloatMode: 240
; IeeeMode: 1
; LDSByteSize: 2560 bytes/workgroup (compile time only)
; SGPRBlocks: 0
; VGPRBlocks: 6
; NumSGPRsForWavesPerEU: 60
; NumVGPRsForWavesPerEU: 52
; Occupancy: 16
; WaveLimiterHint : 0
; COMPUTE_PGM_RSRC2:SCRATCH_EN: 0
; COMPUTE_PGM_RSRC2:USER_SGPR: 6
; COMPUTE_PGM_RSRC2:TRAP_HANDLER: 0
; COMPUTE_PGM_RSRC2:TGID_X_EN: 1
; COMPUTE_PGM_RSRC2:TGID_Y_EN: 1
; COMPUTE_PGM_RSRC2:TGID_Z_EN: 0
; COMPUTE_PGM_RSRC2:TIDIG_COMP_CNT: 1
	.text
	.protected	_Z9conv_colsPfPKfS1_iii ; -- Begin function _Z9conv_colsPfPKfS1_iii
	.globl	_Z9conv_colsPfPKfS1_iii
	.p2align	8
	.type	_Z9conv_colsPfPKfS1_iii,@function
_Z9conv_colsPfPKfS1_iii:                ; @_Z9conv_colsPfPKfS1_iii
; %bb.0:
	s_load_dwordx2 s[8:9], s[4:5], 0x1c
	s_lshl_b32 s0, s7, 6
	s_lshl_b32 s6, s6, 4
	v_add3_u32 v8, v1, s0, -8
	s_clause 0x1
	s_load_dwordx4 s[0:3], s[4:5], 0x0
	s_load_dwordx2 s[12:13], s[4:5], 0x10
	v_lshlrev_b32_e32 v1, 2, v1
	s_waitcnt lgkmcnt(0)
	v_mul_lo_u32 v2, s9, v8
	s_lshl_b32 s4, s9, 3
	s_ashr_i32 s7, s9, 31
	s_ashr_i32 s5, s4, 31
	s_lshl_b64 s[14:15], s[4:5], 2
	s_mov_b32 s4, exec_lo
	v_add3_u32 v2, s6, v0, v2
	s_mov_b32 s6, s9
	v_mad_u32_u24 v0, 0x144, v0, v1
	v_mov_b32_e32 v1, 0
	v_ashrrev_i32_e32 v3, 31, v2
	v_lshlrev_b64 v[2:3], 2, v[2:3]
	v_add_co_u32 v4, vcc_lo, s2, v2
	v_add_co_ci_u32_e64 v5, null, s3, v3, vcc_lo
	s_lshl_b64 s[2:3], s[6:7], 5
	v_add_co_u32 v9, vcc_lo, v4, s14
	v_add_co_ci_u32_e64 v10, null, s15, v5, vcc_lo
	v_add_co_u32 v11, vcc_lo, v9, s2
	v_add_co_ci_u32_e64 v12, null, s3, v10, vcc_lo
	;; [unrolled: 2-line block ×8, first 2 shown]
	s_clause 0x7
	global_load_dword v10, v[9:10], off
	global_load_dword v11, v[11:12], off
	;; [unrolled: 1-line block ×8, first 2 shown]
	v_mov_b32_e32 v9, 0
	s_waitcnt vmcnt(6)
	ds_write2_b32 v0, v10, v11 offset0:8 offset1:16
	s_waitcnt vmcnt(4)
	ds_write2_b32 v0, v12, v13 offset0:24 offset1:32
	;; [unrolled: 2-line block ×4, first 2 shown]
	v_cmpx_lt_i32_e32 -1, v8
	s_cbranch_execz .LBB1_2
; %bb.1:
	global_load_dword v9, v[4:5], off
.LBB1_2:
	s_or_b32 exec_lo, exec_lo, s4
	v_add_nc_u32_e32 v4, 0x48, v8
	s_mov_b32 s4, exec_lo
	s_waitcnt vmcnt(0)
	ds_write_b32 v0, v9
	v_cmpx_gt_i32_e64 s8, v4
	s_cbranch_execz .LBB1_4
; %bb.3:
	v_add_co_u32 v4, vcc_lo, v6, s2
	v_add_co_ci_u32_e64 v5, null, s3, v7, vcc_lo
	global_load_dword v1, v[4:5], off
.LBB1_4:
	s_or_b32 exec_lo, exec_lo, s4
	s_waitcnt vmcnt(0)
	ds_write_b32 v0, v1 offset:288
	s_waitcnt lgkmcnt(0)
	s_barrier
	buffer_gl0_inv
	s_load_dwordx2 s[10:11], s[12:13], 0x3c
	ds_read2_b32 v[4:5], v0 offset1:1
	s_clause 0x1
	s_load_dwordx2 s[6:7], s[12:13], 0x38
	s_load_dwordx2 s[4:5], s[12:13], 0x34
	ds_read2_b32 v[6:7], v0 offset0:2 offset1:3
	s_load_dwordx2 s[2:3], s[12:13], 0x30
	ds_read2_b32 v[8:9], v0 offset0:4 offset1:5
	ds_read2_b32 v[10:11], v0 offset0:6 offset1:7
	;; [unrolled: 1-line block ×3, first 2 shown]
	s_clause 0x9
	s_load_dword s51, s[12:13], 0x38
	s_load_dwordx2 s[42:43], s[12:13], 0x3c
	s_load_dword s50, s[12:13], 0x38
	s_load_dwordx2 s[40:41], s[12:13], 0x2c
	s_load_dwordx2 s[16:17], s[12:13], 0xc
	s_load_dword s52, s[12:13], 0x34
	s_load_dword s48, s[12:13], 0x34
	s_load_dwordx2 s[38:39], s[12:13], 0x28
	s_load_dwordx2 s[18:19], s[12:13], 0x20
	;; [unrolled: 1-line block ×3, first 2 shown]
	ds_read2_b32 v[14:15], v0 offset0:10 offset1:11
	s_clause 0x3
	s_load_dword s53, s[12:13], 0x2c
	s_load_dword s54, s[12:13], 0x30
	;; [unrolled: 1-line block ×4, first 2 shown]
	v_add_co_u32 v2, vcc_lo, s0, v2
	v_add_co_ci_u32_e64 v3, null, s1, v3, vcc_lo
	s_lshl_b32 s0, s9, 4
	s_ashr_i32 s1, s0, 31
	s_lshl_b64 s[0:1], s[0:1], 2
	s_waitcnt lgkmcnt(0)
	v_fma_f32 v22, s11, v4, 0
	v_fma_f32 v23, s11, v12, 0
	v_fmac_f32_e32 v22, s7, v5
	v_fmac_f32_e32 v23, s7, v13
	;; [unrolled: 1-line block ×3, first 2 shown]
	ds_read2_b32 v[5:6], v0 offset0:12 offset1:13
	ds_read2_b32 v[16:17], v0 offset0:14 offset1:15
	s_clause 0x3
	s_load_dword s55, s[12:13], 0x28
	s_load_dword s45, s[12:13], 0x28
	s_load_dwordx2 s[20:21], s[12:13], 0x18
	s_load_dwordx2 s[28:29], s[12:13], 0x1c
	v_fmac_f32_e32 v23, s5, v14
	v_fmac_f32_e32 v22, s3, v7
	v_fmac_f32_e32 v23, s3, v15
	v_fmac_f32_e32 v22, s41, v8
	ds_read2_b32 v[7:8], v0 offset0:16 offset1:17
	s_clause 0x7
	s_load_dword s56, s[12:13], 0x20
	s_load_dword s57, s[12:13], 0x24
	;; [unrolled: 1-line block ×4, first 2 shown]
	s_load_dwordx2 s[22:23], s[12:13], 0x10
	s_load_dwordx2 s[30:31], s[12:13], 0x14
	s_load_dword s58, s[12:13], 0x1c
	s_load_dword s33, s[12:13], 0x1c
	v_fmac_f32_e32 v22, s39, v9
	v_fmac_f32_e32 v22, s35, v10
	ds_read2_b32 v[9:10], v0 offset0:18 offset1:19
	ds_read2_b32 v[18:19], v0 offset0:20 offset1:21
	;; [unrolled: 1-line block ×3, first 2 shown]
	s_waitcnt lgkmcnt(0)
	v_fmac_f32_e32 v23, s41, v5
	s_clause 0x3
	s_load_dword s59, s[12:13], 0x14
	s_load_dword s60, s[12:13], 0x18
	;; [unrolled: 1-line block ×4, first 2 shown]
	v_fmac_f32_e32 v22, s19, v11
	v_fmac_f32_e32 v23, s39, v6
	s_clause 0x3
	s_load_dword s39, s[12:13], 0x10
	s_load_dword s3, s[12:13], 0x10
	s_load_dwordx2 s[36:37], s[12:13], 0x8
	s_load_dwordx2 s[26:27], s[12:13], 0x4
	v_fmac_f32_e32 v22, s29, v12
	v_fma_f32 v4, s11, v7, 0
	v_fmac_f32_e32 v23, s35, v16
	ds_read2_b32 v[11:12], v0 offset0:24 offset1:25
	s_clause 0x1
	s_load_dword s35, s[12:13], 0x0
	s_load_dwordx2 s[24:25], s[12:13], 0x0
	v_fmac_f32_e32 v22, s21, v13
	v_fmac_f32_e32 v4, s7, v8
	;; [unrolled: 1-line block ×6, first 2 shown]
	s_clause 0x3
	s_load_dword s61, s[12:13], 0x3c
	s_load_dword s29, s[12:13], 0xc
	;; [unrolled: 1-line block ×4, first 2 shown]
	ds_read2_b32 v[13:14], v0 offset0:26 offset1:27
	v_fmac_f32_e32 v22, s23, v15
	v_fmac_f32_e32 v4, s52, v10
	;; [unrolled: 1-line block ×3, first 2 shown]
	s_clause 0x1
	s_load_dword s19, s[12:13], 0x4
	s_load_dword s5, s[12:13], 0x4
	v_add_co_u32 v15, vcc_lo, v2, s14
	v_fmac_f32_e32 v4, s54, v18
	v_fmac_f32_e32 v22, s17, v5
	;; [unrolled: 1-line block ×3, first 2 shown]
	s_waitcnt lgkmcnt(0)
	v_fma_f32 v1, s43, v11, 0
	v_fmac_f32_e32 v4, s53, v19
	v_fmac_f32_e32 v22, s37, v6
	ds_read2_b32 v[5:6], v0 offset0:28 offset1:29
	ds_read2_b32 v[8:9], v0 offset0:30 offset1:31
	v_fmac_f32_e32 v23, s23, v10
	v_fmac_f32_e32 v1, s61, v12
	;; [unrolled: 1-line block ×4, first 2 shown]
	s_load_dword s23, s[12:13], 0x40
	v_fmac_f32_e32 v23, s17, v18
	v_fmac_f32_e32 v1, s51, v13
	;; [unrolled: 1-line block ×3, first 2 shown]
	s_clause 0x1
	s_load_dword s31, s[12:13], 0x0
	s_load_dword s21, s[12:13], 0x0
	v_fmac_f32_e32 v22, s25, v17
	v_fmac_f32_e32 v23, s37, v19
	v_fmac_f32_e32 v1, s52, v14
	v_fmac_f32_e32 v4, s56, v11
	s_load_dword s12, s[12:13], 0x8
	v_fmac_f32_e32 v22, s35, v7
	v_fmac_f32_e32 v23, s27, v20
	v_add_co_ci_u32_e64 v16, null, s15, v3, vcc_lo
	v_fmac_f32_e32 v4, s58, v12
	s_waitcnt lgkmcnt(0)
	v_fmac_f32_e32 v1, s54, v5
	v_fmac_f32_e32 v23, s25, v21
	global_store_dword v[15:16], v22, off
	v_add_co_u32 v16, vcc_lo, v2, s0
	v_fmac_f32_e32 v4, s60, v13
	ds_read2_b32 v[12:13], v0 offset0:32 offset1:33
	v_fmac_f32_e32 v1, s53, v6
	v_fmac_f32_e32 v23, s35, v11
	ds_read2_b32 v[10:11], v0 offset0:34 offset1:35
	v_fmac_f32_e32 v4, s59, v14
	ds_read2_b32 v[14:15], v0 offset0:40 offset1:41
	v_fmac_f32_e32 v1, s55, v8
	v_add_co_ci_u32_e64 v17, null, s1, v3, vcc_lo
	v_fmac_f32_e32 v4, s39, v5
	s_mul_i32 s0, s9, 24
	v_fmac_f32_e32 v1, s57, v9
	s_ashr_i32 s1, s0, 31
	v_fmac_f32_e32 v4, s29, v6
	ds_read2_b32 v[5:6], v0 offset0:36 offset1:37
	ds_read2_b32 v[18:19], v0 offset0:38 offset1:39
	global_store_dword v[16:17], v23, off
	s_lshl_b64 s[0:1], s[0:1], 2
	v_fmac_f32_e32 v4, s12, v8
	s_waitcnt lgkmcnt(4)
	v_fmac_f32_e32 v1, s56, v12
	v_fma_f32 v32, s43, v12, 0
	ds_read2_b32 v[7:8], v0 offset0:42 offset1:43
	v_add_co_u32 v24, vcc_lo, v2, s0
	v_fmac_f32_e32 v1, s58, v13
	v_fmac_f32_e32 v32, s61, v13
	;; [unrolled: 1-line block ×3, first 2 shown]
	s_waitcnt lgkmcnt(3)
	v_fma_f32 v33, s23, v14, 0
	v_add_co_ci_u32_e64 v25, null, s1, v3, vcc_lo
	v_fmac_f32_e32 v1, s60, v10
	v_fmac_f32_e32 v32, s50, v10
	ds_read2_b32 v[9:10], v0 offset0:48 offset1:49
	ds_read2_b32 v[16:17], v0 offset0:44 offset1:45
	;; [unrolled: 1-line block ×3, first 2 shown]
	v_fmac_f32_e32 v4, s31, v12
	v_fmac_f32_e32 v33, s42, v15
	;; [unrolled: 1-line block ×4, first 2 shown]
	ds_read2_b32 v[11:12], v0 offset0:50 offset1:51
	ds_read2_b32 v[22:23], v0 offset0:56 offset1:57
	;; [unrolled: 1-line block ×4, first 2 shown]
	global_store_dword v[24:25], v4, off
	s_waitcnt lgkmcnt(9)
	v_fmac_f32_e32 v1, s39, v5
	v_fmac_f32_e32 v32, s49, v5
	s_waitcnt lgkmcnt(7)
	v_fmac_f32_e32 v33, s50, v7
	s_lshl_b32 s0, s9, 5
	v_fmac_f32_e32 v1, s29, v6
	v_fmac_f32_e32 v32, s46, v6
	ds_read2_b32 v[5:6], v0 offset0:58 offset1:59
	v_fmac_f32_e32 v33, s48, v8
	ds_read2_b32 v[24:25], v0 offset0:60 offset1:61
	ds_read2_b32 v[30:31], v0 offset0:62 offset1:63
	s_waitcnt lgkmcnt(9)
	v_fma_f32 v34, s23, v9, 0
	v_fmac_f32_e32 v32, s45, v18
	v_fmac_f32_e32 v1, s12, v18
	s_waitcnt lgkmcnt(8)
	v_fmac_f32_e32 v33, s49, v16
	s_ashr_i32 s1, s0, 31
	v_fmac_f32_e32 v34, s42, v10
	v_fmac_f32_e32 v32, s47, v19
	s_waitcnt lgkmcnt(5)
	v_fma_f32 v35, s23, v22, 0
	v_fmac_f32_e32 v33, s46, v17
	v_fmac_f32_e32 v1, s19, v19
	;; [unrolled: 1-line block ×6, first 2 shown]
	s_lshl_b64 s[0:1], s[0:1], 2
	v_fmac_f32_e32 v34, s4, v12
	v_fmac_f32_e32 v32, s33, v15
	s_waitcnt lgkmcnt(2)
	v_fmac_f32_e32 v35, s6, v5
	v_fmac_f32_e32 v33, s47, v21
	v_add_co_u32 v13, vcc_lo, v2, s0
	v_fmac_f32_e32 v32, s41, v7
	v_fmac_f32_e32 v35, s4, v6
	;; [unrolled: 1-line block ×4, first 2 shown]
	s_mul_i32 s0, s9, 40
	v_fmac_f32_e32 v32, s8, v8
	s_waitcnt lgkmcnt(1)
	v_fmac_f32_e32 v35, s2, v24
	ds_read2_b32 v[7:8], v0 offset0:64 offset1:65
	v_fmac_f32_e32 v34, s40, v27
	v_fmac_f32_e32 v33, s33, v10
	;; [unrolled: 1-line block ×7, first 2 shown]
	ds_read2_b32 v[10:11], v0 offset0:66 offset1:67
	s_waitcnt lgkmcnt(2)
	v_fmac_f32_e32 v35, s38, v30
	v_fmac_f32_e32 v32, s11, v17
	;; [unrolled: 1-line block ×3, first 2 shown]
	ds_read2_b32 v[15:16], v0 offset0:68 offset1:69
	ds_read2_b32 v[17:18], v0 offset0:70 offset1:71
	v_fmac_f32_e32 v33, s8, v12
	v_fmac_f32_e32 v35, s34, v31
	v_add_co_ci_u32_e64 v14, null, s1, v3, vcc_lo
	v_fmac_f32_e32 v34, s18, v22
	v_fmac_f32_e32 v33, s3, v26
	s_ashr_i32 s1, s0, 31
	s_waitcnt lgkmcnt(3)
	v_fmac_f32_e32 v35, s18, v7
	ds_read_b32 v0, v0 offset:288
	v_fmac_f32_e32 v34, s28, v23
	v_fmac_f32_e32 v32, s7, v20
	s_lshl_b64 s[0:1], s[0:1], 2
	v_fmac_f32_e32 v35, s28, v8
	v_fmac_f32_e32 v33, s11, v27
	;; [unrolled: 1-line block ×3, first 2 shown]
	v_add_co_u32 v4, vcc_lo, v2, s0
	s_waitcnt lgkmcnt(3)
	v_fmac_f32_e32 v35, s20, v10
	s_mul_i32 s0, s9, 48
	v_fmac_f32_e32 v34, s30, v6
	v_add_co_ci_u32_e64 v5, null, s1, v3, vcc_lo
	v_fmac_f32_e32 v35, s30, v11
	s_ashr_i32 s1, s0, 31
	v_fmac_f32_e32 v34, s22, v24
	v_fmac_f32_e32 v32, s5, v21
	;; [unrolled: 1-line block ×3, first 2 shown]
	s_waitcnt lgkmcnt(2)
	v_fmac_f32_e32 v35, s22, v15
	s_lshl_b64 s[0:1], s[0:1], 2
	v_fmac_f32_e32 v34, s16, v25
	s_mul_i32 s2, s9, 56
	v_add_co_u32 v8, vcc_lo, v2, s0
	v_fmac_f32_e32 v35, s16, v16
	v_fmac_f32_e32 v34, s36, v30
	s_ashr_i32 s3, s2, 31
	v_fmac_f32_e32 v32, s21, v9
	v_add_co_ci_u32_e64 v9, null, s1, v3, vcc_lo
	s_waitcnt lgkmcnt(1)
	v_fmac_f32_e32 v35, s36, v17
	v_fmac_f32_e32 v34, s26, v31
	s_lshl_b64 s[0:1], s[2:3], 2
	s_lshl_b32 s2, s9, 6
	v_fmac_f32_e32 v33, s5, v29
	v_add_co_u32 v6, vcc_lo, v2, s0
	s_ashr_i32 s3, s2, 31
	v_fmac_f32_e32 v35, s26, v18
	v_fmac_f32_e32 v34, s24, v7
	v_add_co_ci_u32_e64 v7, null, s1, v3, vcc_lo
	s_lshl_b64 s[0:1], s[2:3], 2
	v_fmac_f32_e32 v33, s21, v22
	v_add_co_u32 v2, vcc_lo, v2, s0
	s_waitcnt lgkmcnt(0)
	v_fmac_f32_e32 v35, s24, v0
	v_add_co_ci_u32_e64 v3, null, s1, v3, vcc_lo
	global_store_dword v[13:14], v1, off
	global_store_dword v[4:5], v32, off
	;; [unrolled: 1-line block ×5, first 2 shown]
	s_endpgm
	.section	.rodata,"a",@progbits
	.p2align	6, 0x0
	.amdhsa_kernel _Z9conv_colsPfPKfS1_iii
		.amdhsa_group_segment_fixed_size 5184
		.amdhsa_private_segment_fixed_size 0
		.amdhsa_kernarg_size 36
		.amdhsa_user_sgpr_count 6
		.amdhsa_user_sgpr_private_segment_buffer 1
		.amdhsa_user_sgpr_dispatch_ptr 0
		.amdhsa_user_sgpr_queue_ptr 0
		.amdhsa_user_sgpr_kernarg_segment_ptr 1
		.amdhsa_user_sgpr_dispatch_id 0
		.amdhsa_user_sgpr_flat_scratch_init 0
		.amdhsa_user_sgpr_private_segment_size 0
		.amdhsa_wavefront_size32 1
		.amdhsa_uses_dynamic_stack 0
		.amdhsa_system_sgpr_private_segment_wavefront_offset 0
		.amdhsa_system_sgpr_workgroup_id_x 1
		.amdhsa_system_sgpr_workgroup_id_y 1
		.amdhsa_system_sgpr_workgroup_id_z 0
		.amdhsa_system_sgpr_workgroup_info 0
		.amdhsa_system_vgpr_workitem_id 1
		.amdhsa_next_free_vgpr 36
		.amdhsa_next_free_sgpr 62
		.amdhsa_reserve_vcc 1
		.amdhsa_reserve_flat_scratch 0
		.amdhsa_float_round_mode_32 0
		.amdhsa_float_round_mode_16_64 0
		.amdhsa_float_denorm_mode_32 3
		.amdhsa_float_denorm_mode_16_64 3
		.amdhsa_dx10_clamp 1
		.amdhsa_ieee_mode 1
		.amdhsa_fp16_overflow 0
		.amdhsa_workgroup_processor_mode 1
		.amdhsa_memory_ordered 1
		.amdhsa_forward_progress 1
		.amdhsa_shared_vgpr_count 0
		.amdhsa_exception_fp_ieee_invalid_op 0
		.amdhsa_exception_fp_denorm_src 0
		.amdhsa_exception_fp_ieee_div_zero 0
		.amdhsa_exception_fp_ieee_overflow 0
		.amdhsa_exception_fp_ieee_underflow 0
		.amdhsa_exception_fp_ieee_inexact 0
		.amdhsa_exception_int_div_zero 0
	.end_amdhsa_kernel
	.text
.Lfunc_end1:
	.size	_Z9conv_colsPfPKfS1_iii, .Lfunc_end1-_Z9conv_colsPfPKfS1_iii
                                        ; -- End function
	.set _Z9conv_colsPfPKfS1_iii.num_vgpr, 36
	.set _Z9conv_colsPfPKfS1_iii.num_agpr, 0
	.set _Z9conv_colsPfPKfS1_iii.numbered_sgpr, 62
	.set _Z9conv_colsPfPKfS1_iii.num_named_barrier, 0
	.set _Z9conv_colsPfPKfS1_iii.private_seg_size, 0
	.set _Z9conv_colsPfPKfS1_iii.uses_vcc, 1
	.set _Z9conv_colsPfPKfS1_iii.uses_flat_scratch, 0
	.set _Z9conv_colsPfPKfS1_iii.has_dyn_sized_stack, 0
	.set _Z9conv_colsPfPKfS1_iii.has_recursion, 0
	.set _Z9conv_colsPfPKfS1_iii.has_indirect_call, 0
	.section	.AMDGPU.csdata,"",@progbits
; Kernel info:
; codeLenInByte = 2188
; TotalNumSgprs: 64
; NumVgprs: 36
; ScratchSize: 0
; MemoryBound: 0
; FloatMode: 240
; IeeeMode: 1
; LDSByteSize: 5184 bytes/workgroup (compile time only)
; SGPRBlocks: 0
; VGPRBlocks: 4
; NumSGPRsForWavesPerEU: 64
; NumVGPRsForWavesPerEU: 36
; Occupancy: 16
; WaveLimiterHint : 0
; COMPUTE_PGM_RSRC2:SCRATCH_EN: 0
; COMPUTE_PGM_RSRC2:USER_SGPR: 6
; COMPUTE_PGM_RSRC2:TRAP_HANDLER: 0
; COMPUTE_PGM_RSRC2:TGID_X_EN: 1
; COMPUTE_PGM_RSRC2:TGID_Y_EN: 1
; COMPUTE_PGM_RSRC2:TGID_Z_EN: 0
; COMPUTE_PGM_RSRC2:TIDIG_COMP_CNT: 1
	.text
	.p2alignl 6, 3214868480
	.fill 48, 4, 3214868480
	.section	.AMDGPU.gpr_maximums,"",@progbits
	.set amdgpu.max_num_vgpr, 0
	.set amdgpu.max_num_agpr, 0
	.set amdgpu.max_num_sgpr, 0
	.text
	.type	__hip_cuid_7413ca06a2ffe18f,@object ; @__hip_cuid_7413ca06a2ffe18f
	.section	.bss,"aw",@nobits
	.globl	__hip_cuid_7413ca06a2ffe18f
__hip_cuid_7413ca06a2ffe18f:
	.byte	0                               ; 0x0
	.size	__hip_cuid_7413ca06a2ffe18f, 1

	.ident	"AMD clang version 22.0.0git (https://github.com/RadeonOpenCompute/llvm-project roc-7.2.4 26084 f58b06dce1f9c15707c5f808fd002e18c2accf7e)"
	.section	".note.GNU-stack","",@progbits
	.addrsig
	.addrsig_sym __hip_cuid_7413ca06a2ffe18f
	.amdgpu_metadata
---
amdhsa.kernels:
  - .args:
      - .actual_access:  write_only
        .address_space:  global
        .offset:         0
        .size:           8
        .value_kind:     global_buffer
      - .actual_access:  read_only
        .address_space:  global
        .offset:         8
        .size:           8
        .value_kind:     global_buffer
      - .actual_access:  read_only
        .address_space:  global
        .offset:         16
        .size:           8
        .value_kind:     global_buffer
      - .offset:         24
        .size:           4
        .value_kind:     by_value
      - .offset:         28
        .size:           4
        .value_kind:     by_value
      - .offset:         32
        .size:           4
        .value_kind:     by_value
    .group_segment_fixed_size: 2560
    .kernarg_segment_align: 8
    .kernarg_segment_size: 36
    .language:       OpenCL C
    .language_version:
      - 2
      - 0
    .max_flat_workgroup_size: 1024
    .name:           _Z9conv_rowsPfPKfS1_iii
    .private_segment_fixed_size: 0
    .sgpr_count:     60
    .sgpr_spill_count: 0
    .symbol:         _Z9conv_rowsPfPKfS1_iii.kd
    .uniform_work_group_size: 1
    .uses_dynamic_stack: false
    .vgpr_count:     52
    .vgpr_spill_count: 0
    .wavefront_size: 32
    .workgroup_processor_mode: 1
  - .args:
      - .actual_access:  write_only
        .address_space:  global
        .offset:         0
        .size:           8
        .value_kind:     global_buffer
      - .actual_access:  read_only
        .address_space:  global
        .offset:         8
        .size:           8
        .value_kind:     global_buffer
      - .actual_access:  read_only
        .address_space:  global
        .offset:         16
        .size:           8
        .value_kind:     global_buffer
      - .offset:         24
        .size:           4
        .value_kind:     by_value
      - .offset:         28
        .size:           4
        .value_kind:     by_value
      - .offset:         32
        .size:           4
        .value_kind:     by_value
    .group_segment_fixed_size: 5184
    .kernarg_segment_align: 8
    .kernarg_segment_size: 36
    .language:       OpenCL C
    .language_version:
      - 2
      - 0
    .max_flat_workgroup_size: 1024
    .name:           _Z9conv_colsPfPKfS1_iii
    .private_segment_fixed_size: 0
    .sgpr_count:     64
    .sgpr_spill_count: 0
    .symbol:         _Z9conv_colsPfPKfS1_iii.kd
    .uniform_work_group_size: 1
    .uses_dynamic_stack: false
    .vgpr_count:     36
    .vgpr_spill_count: 0
    .wavefront_size: 32
    .workgroup_processor_mode: 1
amdhsa.target:   amdgcn-amd-amdhsa--gfx1030
amdhsa.version:
  - 1
  - 2
...

	.end_amdgpu_metadata
